;; amdgpu-corpus repo=ROCm/rocFFT kind=compiled arch=gfx906 opt=O3
	.text
	.amdgcn_target "amdgcn-amd-amdhsa--gfx906"
	.amdhsa_code_object_version 6
	.protected	fft_rtc_fwd_len660_factors_11_6_10_wgs_110_tpt_110_halfLds_dp_ip_CI_sbrr_dirReg ; -- Begin function fft_rtc_fwd_len660_factors_11_6_10_wgs_110_tpt_110_halfLds_dp_ip_CI_sbrr_dirReg
	.globl	fft_rtc_fwd_len660_factors_11_6_10_wgs_110_tpt_110_halfLds_dp_ip_CI_sbrr_dirReg
	.p2align	8
	.type	fft_rtc_fwd_len660_factors_11_6_10_wgs_110_tpt_110_halfLds_dp_ip_CI_sbrr_dirReg,@function
fft_rtc_fwd_len660_factors_11_6_10_wgs_110_tpt_110_halfLds_dp_ip_CI_sbrr_dirReg: ; @fft_rtc_fwd_len660_factors_11_6_10_wgs_110_tpt_110_halfLds_dp_ip_CI_sbrr_dirReg
; %bb.0:
	s_load_dwordx2 s[2:3], s[4:5], 0x18
	s_load_dwordx4 s[8:11], s[4:5], 0x0
	s_load_dwordx2 s[14:15], s[4:5], 0x50
	v_mul_u32_u24_e32 v1, 0x254, v0
	v_add_u32_sdwa v5, s6, v1 dst_sel:DWORD dst_unused:UNUSED_PAD src0_sel:DWORD src1_sel:WORD_1
	s_waitcnt lgkmcnt(0)
	s_load_dwordx2 s[12:13], s[2:3], 0x0
	v_cmp_lt_u64_e64 s[0:1], s[10:11], 2
	v_mov_b32_e32 v3, 0
	v_mov_b32_e32 v1, 0
	;; [unrolled: 1-line block ×3, first 2 shown]
	s_and_b64 vcc, exec, s[0:1]
	v_mov_b32_e32 v2, 0
	s_cbranch_vccnz .LBB0_8
; %bb.1:
	s_load_dwordx2 s[0:1], s[4:5], 0x10
	s_add_u32 s6, s2, 8
	s_addc_u32 s7, s3, 0
	v_mov_b32_e32 v1, 0
	v_mov_b32_e32 v2, 0
	s_waitcnt lgkmcnt(0)
	s_add_u32 s16, s0, 8
	s_addc_u32 s17, s1, 0
	s_mov_b64 s[18:19], 1
.LBB0_2:                                ; =>This Inner Loop Header: Depth=1
	s_load_dwordx2 s[20:21], s[16:17], 0x0
                                        ; implicit-def: $vgpr7_vgpr8
	s_waitcnt lgkmcnt(0)
	v_or_b32_e32 v4, s21, v6
	v_cmp_ne_u64_e32 vcc, 0, v[3:4]
	s_and_saveexec_b64 s[0:1], vcc
	s_xor_b64 s[22:23], exec, s[0:1]
	s_cbranch_execz .LBB0_4
; %bb.3:                                ;   in Loop: Header=BB0_2 Depth=1
	v_cvt_f32_u32_e32 v4, s20
	v_cvt_f32_u32_e32 v7, s21
	s_sub_u32 s0, 0, s20
	s_subb_u32 s1, 0, s21
	v_mac_f32_e32 v4, 0x4f800000, v7
	v_rcp_f32_e32 v4, v4
	v_mul_f32_e32 v4, 0x5f7ffffc, v4
	v_mul_f32_e32 v7, 0x2f800000, v4
	v_trunc_f32_e32 v7, v7
	v_mac_f32_e32 v4, 0xcf800000, v7
	v_cvt_u32_f32_e32 v7, v7
	v_cvt_u32_f32_e32 v4, v4
	v_mul_lo_u32 v8, s0, v7
	v_mul_hi_u32 v9, s0, v4
	v_mul_lo_u32 v11, s1, v4
	v_mul_lo_u32 v10, s0, v4
	v_add_u32_e32 v8, v9, v8
	v_add_u32_e32 v8, v8, v11
	v_mul_hi_u32 v9, v4, v10
	v_mul_lo_u32 v11, v4, v8
	v_mul_hi_u32 v13, v4, v8
	v_mul_hi_u32 v12, v7, v10
	v_mul_lo_u32 v10, v7, v10
	v_mul_hi_u32 v14, v7, v8
	v_add_co_u32_e32 v9, vcc, v9, v11
	v_addc_co_u32_e32 v11, vcc, 0, v13, vcc
	v_mul_lo_u32 v8, v7, v8
	v_add_co_u32_e32 v9, vcc, v9, v10
	v_addc_co_u32_e32 v9, vcc, v11, v12, vcc
	v_addc_co_u32_e32 v10, vcc, 0, v14, vcc
	v_add_co_u32_e32 v8, vcc, v9, v8
	v_addc_co_u32_e32 v9, vcc, 0, v10, vcc
	v_add_co_u32_e32 v4, vcc, v4, v8
	v_addc_co_u32_e32 v7, vcc, v7, v9, vcc
	v_mul_lo_u32 v8, s0, v7
	v_mul_hi_u32 v9, s0, v4
	v_mul_lo_u32 v10, s1, v4
	v_mul_lo_u32 v11, s0, v4
	v_add_u32_e32 v8, v9, v8
	v_add_u32_e32 v8, v8, v10
	v_mul_lo_u32 v12, v4, v8
	v_mul_hi_u32 v13, v4, v11
	v_mul_hi_u32 v14, v4, v8
	;; [unrolled: 1-line block ×3, first 2 shown]
	v_mul_lo_u32 v11, v7, v11
	v_mul_hi_u32 v9, v7, v8
	v_add_co_u32_e32 v12, vcc, v13, v12
	v_addc_co_u32_e32 v13, vcc, 0, v14, vcc
	v_mul_lo_u32 v8, v7, v8
	v_add_co_u32_e32 v11, vcc, v12, v11
	v_addc_co_u32_e32 v10, vcc, v13, v10, vcc
	v_addc_co_u32_e32 v9, vcc, 0, v9, vcc
	v_add_co_u32_e32 v8, vcc, v10, v8
	v_addc_co_u32_e32 v9, vcc, 0, v9, vcc
	v_add_co_u32_e32 v4, vcc, v4, v8
	v_addc_co_u32_e32 v9, vcc, v7, v9, vcc
	v_mad_u64_u32 v[7:8], s[0:1], v5, v9, 0
	v_mul_hi_u32 v10, v5, v4
	v_add_co_u32_e32 v11, vcc, v10, v7
	v_addc_co_u32_e32 v12, vcc, 0, v8, vcc
	v_mad_u64_u32 v[7:8], s[0:1], v6, v4, 0
	v_mad_u64_u32 v[9:10], s[0:1], v6, v9, 0
	v_add_co_u32_e32 v4, vcc, v11, v7
	v_addc_co_u32_e32 v4, vcc, v12, v8, vcc
	v_addc_co_u32_e32 v7, vcc, 0, v10, vcc
	v_add_co_u32_e32 v4, vcc, v4, v9
	v_addc_co_u32_e32 v9, vcc, 0, v7, vcc
	v_mul_lo_u32 v10, s21, v4
	v_mul_lo_u32 v11, s20, v9
	v_mad_u64_u32 v[7:8], s[0:1], s20, v4, 0
	v_add3_u32 v8, v8, v11, v10
	v_sub_u32_e32 v10, v6, v8
	v_mov_b32_e32 v11, s21
	v_sub_co_u32_e32 v7, vcc, v5, v7
	v_subb_co_u32_e64 v10, s[0:1], v10, v11, vcc
	v_subrev_co_u32_e64 v11, s[0:1], s20, v7
	v_subbrev_co_u32_e64 v10, s[0:1], 0, v10, s[0:1]
	v_cmp_le_u32_e64 s[0:1], s21, v10
	v_cndmask_b32_e64 v12, 0, -1, s[0:1]
	v_cmp_le_u32_e64 s[0:1], s20, v11
	v_cndmask_b32_e64 v11, 0, -1, s[0:1]
	v_cmp_eq_u32_e64 s[0:1], s21, v10
	v_cndmask_b32_e64 v10, v12, v11, s[0:1]
	v_add_co_u32_e64 v11, s[0:1], 2, v4
	v_addc_co_u32_e64 v12, s[0:1], 0, v9, s[0:1]
	v_add_co_u32_e64 v13, s[0:1], 1, v4
	v_addc_co_u32_e64 v14, s[0:1], 0, v9, s[0:1]
	v_subb_co_u32_e32 v8, vcc, v6, v8, vcc
	v_cmp_ne_u32_e64 s[0:1], 0, v10
	v_cmp_le_u32_e32 vcc, s21, v8
	v_cndmask_b32_e64 v10, v14, v12, s[0:1]
	v_cndmask_b32_e64 v12, 0, -1, vcc
	v_cmp_le_u32_e32 vcc, s20, v7
	v_cndmask_b32_e64 v7, 0, -1, vcc
	v_cmp_eq_u32_e32 vcc, s21, v8
	v_cndmask_b32_e32 v7, v12, v7, vcc
	v_cmp_ne_u32_e32 vcc, 0, v7
	v_cndmask_b32_e64 v7, v13, v11, s[0:1]
	v_cndmask_b32_e32 v8, v9, v10, vcc
	v_cndmask_b32_e32 v7, v4, v7, vcc
.LBB0_4:                                ;   in Loop: Header=BB0_2 Depth=1
	s_andn2_saveexec_b64 s[0:1], s[22:23]
	s_cbranch_execz .LBB0_6
; %bb.5:                                ;   in Loop: Header=BB0_2 Depth=1
	v_cvt_f32_u32_e32 v4, s20
	s_sub_i32 s22, 0, s20
	v_rcp_iflag_f32_e32 v4, v4
	v_mul_f32_e32 v4, 0x4f7ffffe, v4
	v_cvt_u32_f32_e32 v4, v4
	v_mul_lo_u32 v7, s22, v4
	v_mul_hi_u32 v7, v4, v7
	v_add_u32_e32 v4, v4, v7
	v_mul_hi_u32 v4, v5, v4
	v_mul_lo_u32 v7, v4, s20
	v_add_u32_e32 v8, 1, v4
	v_sub_u32_e32 v7, v5, v7
	v_subrev_u32_e32 v9, s20, v7
	v_cmp_le_u32_e32 vcc, s20, v7
	v_cndmask_b32_e32 v7, v7, v9, vcc
	v_cndmask_b32_e32 v4, v4, v8, vcc
	v_add_u32_e32 v8, 1, v4
	v_cmp_le_u32_e32 vcc, s20, v7
	v_cndmask_b32_e32 v7, v4, v8, vcc
	v_mov_b32_e32 v8, v3
.LBB0_6:                                ;   in Loop: Header=BB0_2 Depth=1
	s_or_b64 exec, exec, s[0:1]
	v_mul_lo_u32 v4, v8, s20
	v_mul_lo_u32 v11, v7, s21
	v_mad_u64_u32 v[9:10], s[0:1], v7, s20, 0
	s_load_dwordx2 s[0:1], s[6:7], 0x0
	s_add_u32 s18, s18, 1
	v_add3_u32 v4, v10, v11, v4
	v_sub_co_u32_e32 v5, vcc, v5, v9
	v_subb_co_u32_e32 v4, vcc, v6, v4, vcc
	s_waitcnt lgkmcnt(0)
	v_mul_lo_u32 v4, s0, v4
	v_mul_lo_u32 v6, s1, v5
	v_mad_u64_u32 v[1:2], s[0:1], s0, v5, v[1:2]
	s_addc_u32 s19, s19, 0
	s_add_u32 s6, s6, 8
	v_add3_u32 v2, v6, v2, v4
	v_mov_b32_e32 v4, s10
	v_mov_b32_e32 v5, s11
	s_addc_u32 s7, s7, 0
	v_cmp_ge_u64_e32 vcc, s[18:19], v[4:5]
	s_add_u32 s16, s16, 8
	s_addc_u32 s17, s17, 0
	s_cbranch_vccnz .LBB0_9
; %bb.7:                                ;   in Loop: Header=BB0_2 Depth=1
	v_mov_b32_e32 v5, v7
	v_mov_b32_e32 v6, v8
	s_branch .LBB0_2
.LBB0_8:
	v_mov_b32_e32 v8, v6
	v_mov_b32_e32 v7, v5
.LBB0_9:
	s_lshl_b64 s[0:1], s[10:11], 3
	s_add_u32 s0, s2, s0
	s_addc_u32 s1, s3, s1
	s_load_dwordx2 s[2:3], s[0:1], 0x0
	s_load_dwordx2 s[6:7], s[4:5], 0x20
                                        ; implicit-def: $vgpr10_vgpr11
                                        ; implicit-def: $vgpr14_vgpr15
                                        ; implicit-def: $vgpr18_vgpr19
                                        ; implicit-def: $vgpr28_vgpr29
                                        ; implicit-def: $vgpr36_vgpr37
                                        ; implicit-def: $vgpr40_vgpr41
                                        ; implicit-def: $vgpr44_vgpr45
                                        ; implicit-def: $vgpr48_vgpr49
                                        ; implicit-def: $vgpr52_vgpr53
                                        ; implicit-def: $vgpr56_vgpr57
                                        ; implicit-def: $vgpr32_vgpr33
	s_waitcnt lgkmcnt(0)
	v_mad_u64_u32 v[1:2], s[0:1], s2, v7, v[1:2]
	s_mov_b32 s0, 0x253c826
	v_mul_lo_u32 v3, s2, v8
	v_mul_lo_u32 v4, s3, v7
	v_mul_hi_u32 v5, v0, s0
	v_cmp_gt_u64_e32 vcc, s[6:7], v[7:8]
	v_add3_u32 v2, v4, v2, v3
	v_mul_u32_u24_e32 v3, 0x6e, v5
	v_sub_u32_e32 v114, v0, v3
	v_cmp_gt_u32_e64 s[0:1], 60, v114
	v_lshlrev_b64 v[70:71], 4, v[1:2]
	s_and_b64 s[2:3], vcc, s[0:1]
	s_and_saveexec_b64 s[4:5], s[2:3]
	s_cbranch_execz .LBB0_11
; %bb.10:
	v_mad_u64_u32 v[0:1], s[2:3], s12, v114, 0
	v_add_u32_e32 v5, 60, v114
	v_mov_b32_e32 v4, s15
	v_mad_u64_u32 v[1:2], s[2:3], s13, v114, v[1:2]
	v_mad_u64_u32 v[2:3], s[2:3], s12, v5, 0
	v_add_co_u32_e64 v16, s[2:3], s14, v70
	v_addc_co_u32_e64 v17, s[2:3], v4, v71, s[2:3]
	v_mad_u64_u32 v[3:4], s[2:3], s13, v5, v[3:4]
	v_add_u32_e32 v6, 0x78, v114
	v_mad_u64_u32 v[4:5], s[2:3], s12, v6, 0
	v_lshlrev_b64 v[0:1], 4, v[0:1]
	v_add_u32_e32 v8, 0xb4, v114
	v_add_co_u32_e64 v0, s[2:3], v16, v0
	v_addc_co_u32_e64 v1, s[2:3], v17, v1, s[2:3]
	v_mad_u64_u32 v[5:6], s[2:3], s13, v6, v[5:6]
	v_mad_u64_u32 v[6:7], s[2:3], s12, v8, 0
	v_lshlrev_b64 v[2:3], 4, v[2:3]
	v_add_u32_e32 v10, 0xf0, v114
	v_add_co_u32_e64 v2, s[2:3], v16, v2
	v_addc_co_u32_e64 v3, s[2:3], v17, v3, s[2:3]
	v_mad_u64_u32 v[7:8], s[2:3], s13, v8, v[7:8]
	;; [unrolled: 6-line block ×4, first 2 shown]
	v_mad_u64_u32 v[12:13], s[2:3], s12, v14, 0
	v_lshlrev_b64 v[8:9], 4, v[8:9]
	v_add_co_u32_e64 v20, s[2:3], v16, v8
	v_addc_co_u32_e64 v21, s[2:3], v17, v9, s[2:3]
	v_lshlrev_b64 v[8:9], 4, v[10:11]
	v_mov_b32_e32 v10, v13
	v_mad_u64_u32 v[10:11], s[2:3], s13, v14, v[10:11]
	v_add_u32_e32 v11, 0x1a4, v114
	v_mad_u64_u32 v[14:15], s[2:3], s12, v11, 0
	v_add_co_u32_e64 v22, s[2:3], v16, v8
	v_mov_b32_e32 v13, v10
	v_mov_b32_e32 v10, v15
	v_addc_co_u32_e64 v23, s[2:3], v17, v9, s[2:3]
	v_lshlrev_b64 v[8:9], 4, v[12:13]
	v_mad_u64_u32 v[10:11], s[2:3], s13, v11, v[10:11]
	v_add_u32_e32 v13, 0x1e0, v114
	v_mad_u64_u32 v[11:12], s[2:3], s12, v13, 0
	v_add_co_u32_e64 v24, s[2:3], v16, v8
	v_mov_b32_e32 v15, v10
	v_mov_b32_e32 v10, v12
	v_addc_co_u32_e64 v25, s[2:3], v17, v9, s[2:3]
	v_lshlrev_b64 v[8:9], 4, v[14:15]
	v_mad_u64_u32 v[12:13], s[2:3], s13, v13, v[10:11]
	v_add_u32_e32 v15, 0x21c, v114
	v_mad_u64_u32 v[13:14], s[2:3], s12, v15, 0
	v_add_co_u32_e64 v58, s[2:3], v16, v8
	v_mov_b32_e32 v10, v14
	v_addc_co_u32_e64 v59, s[2:3], v17, v9, s[2:3]
	v_lshlrev_b64 v[8:9], 4, v[11:12]
	v_mad_u64_u32 v[10:11], s[2:3], s13, v15, v[10:11]
	v_add_u32_e32 v15, 0x258, v114
	v_mad_u64_u32 v[11:12], s[2:3], s12, v15, 0
	v_add_co_u32_e64 v60, s[2:3], v16, v8
	v_mov_b32_e32 v14, v10
	v_mov_b32_e32 v10, v12
	v_addc_co_u32_e64 v61, s[2:3], v17, v9, s[2:3]
	v_lshlrev_b64 v[8:9], 4, v[13:14]
	v_mad_u64_u32 v[12:13], s[2:3], s13, v15, v[10:11]
	v_add_co_u32_e64 v62, s[2:3], v16, v8
	v_addc_co_u32_e64 v63, s[2:3], v17, v9, s[2:3]
	v_lshlrev_b64 v[8:9], 4, v[11:12]
	v_add_co_u32_e64 v64, s[2:3], v16, v8
	v_addc_co_u32_e64 v65, s[2:3], v17, v9, s[2:3]
	global_load_dwordx4 v[30:33], v[0:1], off
	global_load_dwordx4 v[54:57], v[2:3], off
	;; [unrolled: 1-line block ×11, first 2 shown]
.LBB0_11:
	s_or_b64 exec, exec, s[4:5]
	s_waitcnt vmcnt(0)
	v_add_f64 v[20:21], v[8:9], v[54:55]
	s_mov_b32 s4, 0xd9c712b6
	s_mov_b32 s2, 0x640f44db
	;; [unrolled: 1-line block ×4, first 2 shown]
	v_add_f64 v[22:23], v[12:13], v[50:51]
	v_add_f64 v[62:63], v[56:57], -v[10:11]
	s_mov_b32 s6, 0x7f775887
	v_mul_f64 v[24:25], v[20:21], s[4:5]
	v_mul_f64 v[66:67], v[20:21], s[2:3]
	s_mov_b32 s24, 0x8eee2c13
	s_mov_b32 s18, 0x43842ef
	;; [unrolled: 1-line block ×7, first 2 shown]
	v_add_f64 v[60:61], v[52:53], -v[14:15]
	v_mul_f64 v[58:59], v[22:23], s[6:7]
	v_fma_f64 v[0:1], v[62:63], s[24:25], v[24:25]
	v_fma_f64 v[4:5], v[62:63], s[18:19], v[66:67]
	v_mul_f64 v[68:69], v[22:23], s[10:11]
	v_add_f64 v[64:65], v[16:17], v[46:47]
	s_mov_b32 s20, 0xbb3a28a1
	s_mov_b32 s26, 0xfd768dbf
	;; [unrolled: 1-line block ×6, first 2 shown]
	v_fma_f64 v[2:3], v[60:61], s[20:21], v[58:59]
	v_add_f64 v[0:1], v[30:31], v[0:1]
	v_add_f64 v[4:5], v[30:31], v[4:5]
	v_fma_f64 v[6:7], v[60:61], s[28:29], v[68:69]
	v_add_f64 v[74:75], v[48:49], -v[18:19]
	v_mul_f64 v[72:73], v[64:65], s[10:11]
	v_mul_f64 v[78:79], v[64:65], s[4:5]
	s_mov_b32 s23, 0x3fed1bb4
	s_mov_b32 s22, s24
	v_add_f64 v[0:1], v[2:3], v[0:1]
	v_mul_f64 v[90:91], v[20:21], s[6:7]
	v_add_f64 v[2:3], v[6:7], v[4:5]
	v_mul_f64 v[112:113], v[20:21], s[10:11]
	v_fma_f64 v[4:5], v[74:75], s[28:29], v[72:73]
	v_fma_f64 v[6:7], v[74:75], s[22:23], v[78:79]
	s_mov_b32 s16, 0x8764f0ba
	s_mov_b32 s17, 0x3feaeb8c
	v_mul_f64 v[94:95], v[22:23], s[2:3]
	v_mul_f64 v[106:107], v[22:23], s[16:17]
	s_mov_b32 s30, 0xf8bb580b
	s_mov_b32 s35, 0x3fefac9e
	v_add_f64 v[0:1], v[4:5], v[0:1]
	v_add_f64 v[2:3], v[6:7], v[2:3]
	v_fma_f64 v[4:5], v[62:63], s[20:21], v[90:91]
	v_fma_f64 v[6:7], v[62:63], s[26:27], v[112:113]
	s_mov_b32 s34, s18
	s_mov_b32 s31, 0x3fe14ced
	v_add_f64 v[76:77], v[26:27], v[42:43]
	v_fma_f64 v[86:87], v[60:61], s[34:35], v[94:95]
	v_fma_f64 v[88:89], v[60:61], s[30:31], v[106:107]
	v_mul_f64 v[96:97], v[64:65], s[16:17]
	v_add_f64 v[4:5], v[30:31], v[4:5]
	v_add_f64 v[6:7], v[30:31], v[6:7]
	v_mul_f64 v[102:103], v[64:65], s[6:7]
	s_mov_b32 s37, 0xbfe14ced
	s_mov_b32 s36, s30
	v_add_f64 v[84:85], v[44:45], -v[28:29]
	v_mul_f64 v[80:81], v[76:77], s[2:3]
	v_mul_f64 v[92:93], v[76:77], s[16:17]
	v_add_f64 v[82:83], v[34:35], v[38:39]
	v_add_f64 v[4:5], v[86:87], v[4:5]
	;; [unrolled: 1-line block ×3, first 2 shown]
	v_fma_f64 v[108:109], v[74:75], s[36:37], v[96:97]
	v_fma_f64 v[110:111], v[74:75], s[20:21], v[102:103]
	v_mul_f64 v[100:101], v[76:77], s[10:11]
	v_mul_f64 v[104:105], v[76:77], s[4:5]
	v_fma_f64 v[115:116], v[84:85], s[34:35], v[80:81]
	v_fma_f64 v[117:118], v[84:85], s[36:37], v[92:93]
	v_add_f64 v[88:89], v[40:41], -v[36:37]
	v_mul_f64 v[86:87], v[82:83], s[16:17]
	v_mul_f64 v[98:99], v[82:83], s[6:7]
	v_add_f64 v[4:5], v[108:109], v[4:5]
	v_add_f64 v[6:7], v[110:111], v[6:7]
	v_fma_f64 v[119:120], v[84:85], s[26:27], v[100:101]
	v_fma_f64 v[121:122], v[84:85], s[22:23], v[104:105]
	v_mul_f64 v[108:109], v[82:83], s[4:5]
	v_mul_f64 v[110:111], v[82:83], s[2:3]
	v_add_f64 v[0:1], v[115:116], v[0:1]
	v_add_f64 v[2:3], v[117:118], v[2:3]
	v_fma_f64 v[115:116], v[88:89], s[30:31], v[86:87]
	v_fma_f64 v[117:118], v[88:89], s[20:21], v[98:99]
	v_add_f64 v[119:120], v[119:120], v[4:5]
	v_add_f64 v[121:122], v[121:122], v[6:7]
	v_fma_f64 v[123:124], v[88:89], s[22:23], v[108:109]
	v_fma_f64 v[125:126], v[88:89], s[18:19], v[110:111]
	v_add_f64 v[6:7], v[115:116], v[0:1]
	v_add_f64 v[4:5], v[117:118], v[2:3]
	;; [unrolled: 1-line block ×4, first 2 shown]
	s_and_saveexec_b64 s[38:39], s[0:1]
	s_cbranch_execz .LBB0_13
; %bb.12:
	v_mul_f64 v[115:116], v[62:63], s[26:27]
	v_mul_f64 v[123:124], v[60:61], s[30:31]
	;; [unrolled: 1-line block ×5, first 2 shown]
	v_add_f64 v[135:136], v[54:55], v[30:31]
	v_mul_f64 v[119:120], v[84:85], s[22:23]
	v_mul_f64 v[125:126], v[88:89], s[22:23]
	v_add_f64 v[112:113], v[112:113], -v[115:116]
	v_add_f64 v[106:107], v[106:107], -v[123:124]
	v_mul_f64 v[133:134], v[60:61], s[34:35]
	v_mul_f64 v[137:138], v[62:63], s[18:19]
	v_add_f64 v[90:91], v[90:91], -v[131:132]
	v_add_f64 v[102:103], v[102:103], -v[121:122]
	;; [unrolled: 1-line block ×3, first 2 shown]
	v_add_f64 v[117:118], v[50:51], v[135:136]
	v_add_f64 v[112:113], v[30:31], v[112:113]
	v_mul_f64 v[129:130], v[84:85], s[26:27]
	v_mul_f64 v[115:116], v[74:75], s[36:37]
	;; [unrolled: 1-line block ×3, first 2 shown]
	v_add_f64 v[94:95], v[94:95], -v[133:134]
	v_add_f64 v[66:67], v[66:67], -v[137:138]
	v_add_f64 v[90:91], v[30:31], v[90:91]
	v_add_f64 v[104:105], v[104:105], -v[119:120]
	v_add_f64 v[106:107], v[106:107], v[112:113]
	v_mul_f64 v[127:128], v[62:63], s[24:25]
	v_mul_f64 v[143:144], v[74:75], s[22:23]
	;; [unrolled: 1-line block ×3, first 2 shown]
	v_add_f64 v[96:97], v[96:97], -v[115:116]
	v_add_f64 v[68:69], v[68:69], -v[123:124]
	v_add_f64 v[66:67], v[30:31], v[66:67]
	v_add_f64 v[90:91], v[94:95], v[90:91]
	;; [unrolled: 1-line block ×3, first 2 shown]
	v_add_f64 v[106:107], v[108:109], -v[125:126]
	v_add_f64 v[108:109], v[46:47], v[117:118]
	v_add_f64 v[94:95], v[100:101], -v[129:130]
	v_mul_f64 v[62:63], v[62:63], s[36:37]
	v_mul_f64 v[139:140], v[60:61], s[20:21]
	v_add_f64 v[78:79], v[78:79], -v[143:144]
	v_add_f64 v[66:67], v[68:69], v[66:67]
	v_add_f64 v[100:101], v[104:105], v[102:103]
	;; [unrolled: 1-line block ×4, first 2 shown]
	v_add_f64 v[90:91], v[98:99], -v[112:113]
	v_mul_f64 v[60:61], v[60:61], s[24:25]
	v_fma_f64 v[96:97], v[20:21], s[16:17], -v[62:63]
	v_add_f64 v[24:25], v[24:25], -v[127:128]
	v_fma_f64 v[20:21], v[20:21], s[16:17], v[62:63]
	v_mul_f64 v[141:142], v[74:75], s[28:29]
	v_add_f64 v[66:67], v[78:79], v[66:67]
	v_add_f64 v[98:99], v[38:39], v[104:105]
	v_mul_f64 v[74:75], v[74:75], s[18:19]
	v_fma_f64 v[62:63], v[22:23], s[4:5], -v[60:61]
	v_add_f64 v[78:79], v[30:31], v[96:97]
	v_add_f64 v[58:59], v[58:59], -v[139:140]
	v_add_f64 v[24:25], v[30:31], v[24:25]
	v_fma_f64 v[22:23], v[22:23], s[4:5], v[60:61]
	v_add_f64 v[20:21], v[30:31], v[20:21]
	v_add_f64 v[96:97], v[34:35], v[98:99]
	v_mul_f64 v[145:146], v[84:85], s[34:35]
	v_mul_f64 v[147:148], v[84:85], s[36:37]
	;; [unrolled: 1-line block ×3, first 2 shown]
	v_fma_f64 v[30:31], v[64:65], s[2:3], -v[74:75]
	v_add_f64 v[60:61], v[62:63], v[78:79]
	v_add_f64 v[72:73], v[72:73], -v[141:142]
	v_add_f64 v[24:25], v[58:59], v[24:25]
	v_add_f64 v[62:63], v[26:27], v[96:97]
	v_fma_f64 v[64:65], v[64:65], s[2:3], v[74:75]
	v_add_f64 v[20:21], v[22:23], v[20:21]
	v_mul_f64 v[78:79], v[88:89], s[26:27]
	v_fma_f64 v[22:23], v[76:77], s[6:7], -v[84:85]
	v_add_f64 v[30:31], v[30:31], v[60:61]
	v_mul_f64 v[102:103], v[88:89], s[30:31]
	v_add_f64 v[92:93], v[92:93], -v[147:148]
	v_add_f64 v[60:61], v[16:17], v[62:63]
	v_add_f64 v[58:59], v[80:81], -v[145:146]
	v_add_f64 v[24:25], v[72:73], v[24:25]
	v_fma_f64 v[72:73], v[76:77], s[6:7], v[84:85]
	v_add_f64 v[20:21], v[64:65], v[20:21]
	v_fma_f64 v[64:65], v[82:83], s[10:11], -v[78:79]
	v_add_f64 v[22:23], v[22:23], v[30:31]
	v_add_f64 v[62:63], v[92:93], v[66:67]
	;; [unrolled: 1-line block ×3, first 2 shown]
	v_add_f64 v[66:67], v[86:87], -v[102:103]
	v_add_f64 v[24:25], v[58:59], v[24:25]
	v_add_f64 v[58:59], v[94:95], v[68:69]
	v_fma_f64 v[68:69], v[82:83], s[10:11], v[78:79]
	v_add_f64 v[20:21], v[72:73], v[20:21]
	v_add_f64 v[22:23], v[64:65], v[22:23]
	;; [unrolled: 1-line block ×7, first 2 shown]
	s_movk_i32 s33, 0x58
	v_add_f64 v[20:21], v[68:69], v[20:21]
	v_mad_u32_u24 v64, v114, s33, 0
	ds_write2_b64 v64, v[30:31], v[22:23] offset1:1
	ds_write2_b64 v64, v[24:25], v[62:63] offset0:2 offset1:3
	ds_write2_b64 v64, v[58:59], v[60:61] offset0:4 offset1:5
	;; [unrolled: 1-line block ×4, first 2 shown]
	ds_write_b64 v64, v[20:21] offset:80
.LBB0_13:
	s_or_b64 exec, exec, s[38:39]
	v_add_f64 v[102:103], v[54:55], -v[8:9]
	v_add_f64 v[86:87], v[10:11], v[56:57]
	v_add_f64 v[100:101], v[50:51], -v[12:13]
	v_add_f64 v[54:55], v[14:15], v[52:53]
	;; [unrolled: 2-line block ×4, first 2 shown]
	v_mul_f64 v[104:105], v[102:103], s[24:25]
	v_mul_f64 v[106:107], v[102:103], s[18:19]
	;; [unrolled: 1-line block ×8, first 2 shown]
	v_fma_f64 v[16:17], v[86:87], s[4:5], -v[104:105]
	v_fma_f64 v[20:21], v[86:87], s[2:3], -v[106:107]
	;; [unrolled: 1-line block ×4, first 2 shown]
	v_mul_f64 v[46:47], v[88:89], s[28:29]
	v_mul_f64 v[50:51], v[88:89], s[22:23]
	;; [unrolled: 1-line block ×4, first 2 shown]
	v_fma_f64 v[30:31], v[54:55], s[6:7], -v[92:93]
	v_add_f64 v[16:17], v[32:33], v[16:17]
	v_fma_f64 v[58:59], v[54:55], s[10:11], -v[94:95]
	v_fma_f64 v[60:61], v[54:55], s[2:3], -v[96:97]
	;; [unrolled: 1-line block ×3, first 2 shown]
	v_add_f64 v[20:21], v[32:33], v[20:21]
	v_add_f64 v[22:23], v[32:33], v[22:23]
	;; [unrolled: 1-line block ×3, first 2 shown]
	v_fma_f64 v[64:65], v[12:13], s[10:11], -v[46:47]
	v_add_f64 v[16:17], v[30:31], v[16:17]
	v_fma_f64 v[26:27], v[12:13], s[4:5], -v[50:51]
	v_fma_f64 v[30:31], v[12:13], s[16:17], -v[72:73]
	;; [unrolled: 1-line block ×3, first 2 shown]
	v_add_f64 v[20:21], v[58:59], v[20:21]
	v_add_f64 v[22:23], v[60:61], v[22:23]
	;; [unrolled: 1-line block ×3, first 2 shown]
	v_mul_f64 v[76:77], v[90:91], s[34:35]
	v_mul_f64 v[78:79], v[90:91], s[36:37]
	;; [unrolled: 1-line block ×4, first 2 shown]
	v_add_f64 v[80:81], v[38:39], -v[34:35]
	v_add_f64 v[58:59], v[64:65], v[16:17]
	v_add_f64 v[20:21], v[26:27], v[20:21]
	;; [unrolled: 1-line block ×4, first 2 shown]
	v_fma_f64 v[26:27], v[8:9], s[2:3], -v[76:77]
	v_fma_f64 v[60:61], v[8:9], s[16:17], -v[78:79]
	;; [unrolled: 1-line block ×4, first 2 shown]
	v_add_f64 v[16:17], v[36:37], v[40:41]
	v_mul_f64 v[42:43], v[80:81], s[30:31]
	v_mul_f64 v[38:39], v[80:81], s[20:21]
	;; [unrolled: 1-line block ×4, first 2 shown]
	v_add_f64 v[26:27], v[26:27], v[58:59]
	v_add_f64 v[20:21], v[60:61], v[20:21]
	;; [unrolled: 1-line block ×4, first 2 shown]
	v_fma_f64 v[24:25], v[16:17], s[16:17], -v[42:43]
	v_fma_f64 v[60:61], v[16:17], s[6:7], -v[38:39]
	;; [unrolled: 1-line block ×4, first 2 shown]
	v_lshl_add_u32 v112, v114, 3, 0
	v_add_u32_e32 v113, 0x400, v112
	v_add_u32_e32 v115, 0xc00, v112
	s_waitcnt lgkmcnt(0)
	v_add_f64 v[26:27], v[24:25], v[26:27]
	v_add_f64 v[24:25], v[60:61], v[20:21]
	;; [unrolled: 1-line block ×4, first 2 shown]
	s_barrier
	ds_read2_b64 v[58:61], v112 offset1:110
	ds_read2_b64 v[62:65], v113 offset0:92 offset1:202
	ds_read2_b64 v[66:69], v115 offset0:56 offset1:166
	s_waitcnt lgkmcnt(0)
	s_barrier
	s_and_saveexec_b64 s[18:19], s[0:1]
	s_cbranch_execz .LBB0_15
; %bb.14:
	v_add_f64 v[56:57], v[56:57], v[32:33]
	s_mov_b32 s0, 0xf8bb580b
	s_mov_b32 s1, 0xbfe14ced
	v_mul_f64 v[116:117], v[86:87], s[4:5]
	v_mul_f64 v[118:119], v[86:87], s[2:3]
	;; [unrolled: 1-line block ×5, first 2 shown]
	v_add_f64 v[52:53], v[52:53], v[56:57]
	s_mov_b32 s20, 0x8764f0ba
	s_mov_b32 s22, 0x8eee2c13
	;; [unrolled: 1-line block ×4, first 2 shown]
	v_mul_f64 v[124:125], v[54:55], s[6:7]
	v_mul_f64 v[126:127], v[54:55], s[10:11]
	;; [unrolled: 1-line block ×3, first 2 shown]
	v_add_f64 v[48:49], v[48:49], v[52:53]
	v_mul_f64 v[100:101], v[100:101], s[22:23]
	v_fma_f64 v[144:145], v[86:87], s[20:21], v[102:103]
	v_fma_f64 v[86:87], v[86:87], s[20:21], -v[102:103]
	v_mul_f64 v[56:57], v[54:55], s[16:17]
	v_mul_f64 v[136:137], v[12:13], s[6:7]
	s_mov_b32 s0, 0xd9c712b6
	s_mov_b32 s1, 0x3fda9628
	v_add_f64 v[44:45], v[44:45], v[48:49]
	v_mul_f64 v[130:131], v[12:13], s[10:11]
	v_mul_f64 v[132:133], v[12:13], s[4:5]
	;; [unrolled: 1-line block ×3, first 2 shown]
	v_fma_f64 v[102:103], v[54:55], s[0:1], v[100:101]
	v_fma_f64 v[54:55], v[54:55], s[0:1], -v[100:101]
	v_add_f64 v[56:57], v[56:57], v[98:99]
	v_mul_f64 v[140:141], v[8:9], s[4:5]
	v_add_f64 v[40:41], v[40:41], v[44:45]
	v_add_f64 v[44:45], v[116:117], v[104:105]
	;; [unrolled: 1-line block ×6, first 2 shown]
	s_mov_b32 s0, 0x640f44db
	v_mul_f64 v[98:99], v[16:17], s[4:5]
	v_add_f64 v[36:37], v[36:37], v[40:41]
	v_mul_f64 v[40:41], v[16:17], s[6:7]
	s_mov_b32 s6, 0x43842ef
	s_mov_b32 s7, 0xbfefac9e
	v_add_f64 v[44:45], v[32:33], v[44:45]
	v_add_f64 v[104:105], v[32:33], v[104:105]
	;; [unrolled: 1-line block ×6, first 2 shown]
	v_mul_f64 v[36:37], v[88:89], s[6:7]
	v_add_f64 v[88:89], v[124:125], v[92:93]
	v_add_f64 v[92:93], v[126:127], v[94:95]
	;; [unrolled: 1-line block ×3, first 2 shown]
	s_mov_b32 s4, 0xbb3a28a1
	s_mov_b32 s1, 0xbfc2375f
	;; [unrolled: 1-line block ×3, first 2 shown]
	v_mul_f64 v[52:53], v[8:9], s[2:3]
	v_add_f64 v[86:87], v[102:103], v[110:111]
	v_fma_f64 v[96:97], v[12:13], s[0:1], v[36:37]
	v_add_f64 v[18:19], v[18:19], v[28:29]
	v_add_f64 v[28:29], v[54:55], v[32:33]
	;; [unrolled: 1-line block ×5, first 2 shown]
	v_mul_f64 v[88:89], v[90:91], s[4:5]
	v_fma_f64 v[12:13], v[12:13], s[0:1], -v[36:37]
	v_add_f64 v[36:37], v[130:131], v[46:47]
	v_add_f64 v[46:47], v[132:133], v[50:51]
	;; [unrolled: 1-line block ×3, first 2 shown]
	v_mul_f64 v[138:139], v[8:9], s[16:17]
	v_mul_f64 v[48:49], v[8:9], s[10:11]
	v_add_f64 v[56:57], v[56:57], v[108:109]
	v_add_f64 v[72:73], v[136:137], v[74:75]
	s_mov_b32 s0, 0x7f775887
	v_mul_f64 v[90:91], v[16:17], s[2:3]
	s_mov_b32 s2, 0xfd768dbf
	s_mov_b32 s1, 0xbfe4f49e
	s_mov_b32 s3, 0xbfd207e7
	v_add_f64 v[86:87], v[96:97], v[86:87]
	v_fma_f64 v[74:75], v[8:9], s[0:1], v[88:89]
	v_add_f64 v[14:15], v[14:15], v[18:19]
	v_add_f64 v[12:13], v[12:13], v[28:29]
	;; [unrolled: 1-line block ×6, first 2 shown]
	v_mul_f64 v[54:55], v[80:81], s[2:3]
	v_mul_f64 v[142:143], v[16:17], s[16:17]
	v_add_f64 v[50:51], v[138:139], v[78:79]
	v_add_f64 v[36:37], v[72:73], v[56:57]
	v_add_f64 v[48:49], v[48:49], v[82:83]
	v_add_f64 v[52:53], v[140:141], v[84:85]
	v_fma_f64 v[8:9], v[8:9], s[0:1], -v[88:89]
	s_mov_b32 s0, 0x9bcd5057
	s_mov_b32 s1, 0xbfeeb42a
	v_add_f64 v[44:45], v[74:75], v[86:87]
	v_add_f64 v[18:19], v[46:47], v[18:19]
	v_fma_f64 v[46:47], v[16:17], s[0:1], v[54:55]
	v_add_f64 v[28:29], v[50:51], v[28:29]
	v_add_f64 v[42:43], v[142:143], v[42:43]
	v_add_f64 v[38:39], v[40:41], v[38:39]
	v_add_f64 v[32:33], v[48:49], v[32:33]
	v_add_f64 v[36:37], v[52:53], v[36:37]
	v_add_f64 v[34:35], v[98:99], v[34:35]
	v_add_f64 v[30:31], v[90:91], v[30:31]
	v_add_f64 v[8:9], v[8:9], v[12:13]
	v_fma_f64 v[12:13], v[16:17], s[0:1], -v[54:55]
	v_add_f64 v[10:11], v[10:11], v[14:15]
	v_add_f64 v[14:15], v[46:47], v[44:45]
	;; [unrolled: 1-line block ×6, first 2 shown]
	s_movk_i32 s0, 0x50
	v_add_f64 v[8:9], v[12:13], v[8:9]
	v_mad_u32_u24 v12, v114, s0, v112
	ds_write2_b64 v12, v[10:11], v[14:15] offset1:1
	ds_write2_b64 v12, v[16:17], v[18:19] offset0:2 offset1:3
	ds_write2_b64 v12, v[28:29], v[30:31] offset0:4 offset1:5
	;; [unrolled: 1-line block ×4, first 2 shown]
	ds_write_b64 v12, v[8:9] offset:80
.LBB0_15:
	s_or_b64 exec, exec, s[18:19]
	s_movk_i32 s0, 0x75
	v_mul_lo_u16_sdwa v8, v114, s0 dst_sel:DWORD dst_unused:UNUSED_PAD src0_sel:BYTE_0 src1_sel:DWORD
	v_sub_u16_sdwa v9, v114, v8 dst_sel:DWORD dst_unused:UNUSED_PAD src0_sel:DWORD src1_sel:BYTE_1
	v_lshrrev_b16_e32 v9, 1, v9
	v_and_b32_e32 v9, 0x7f, v9
	v_add_u16_sdwa v8, v9, v8 dst_sel:DWORD dst_unused:UNUSED_PAD src0_sel:DWORD src1_sel:BYTE_1
	v_lshrrev_b16_e32 v72, 3, v8
	v_mul_lo_u16_e32 v8, 11, v72
	v_sub_u16_e32 v73, v114, v8
	v_mov_b32_e32 v8, 5
	v_mul_u32_u24_sdwa v8, v73, v8 dst_sel:DWORD dst_unused:UNUSED_PAD src0_sel:BYTE_0 src1_sel:DWORD
	v_lshlrev_b32_e32 v12, 4, v8
	s_waitcnt lgkmcnt(0)
	s_barrier
	global_load_dwordx4 v[8:11], v12, s[8:9] offset:32
	global_load_dwordx4 v[16:19], v12, s[8:9] offset:64
	global_load_dwordx4 v[28:31], v12, s[8:9]
	global_load_dwordx4 v[36:39], v12, s[8:9] offset:16
	global_load_dwordx4 v[40:43], v12, s[8:9] offset:48
	ds_read2_b64 v[44:47], v113 offset0:92 offset1:202
	ds_read2_b64 v[48:51], v115 offset0:56 offset1:166
	ds_read2_b64 v[12:15], v112 offset1:110
	s_mov_b32 s2, 0xe8584caa
	s_mov_b32 s3, 0x3febb67a
	;; [unrolled: 1-line block ×4, first 2 shown]
	s_movk_i32 s0, 0x42
	v_cmp_gt_u32_e64 s[0:1], s0, v114
	s_waitcnt vmcnt(0) lgkmcnt(0)
	s_barrier
	v_mul_f64 v[32:33], v[46:47], v[10:11]
	v_mul_f64 v[10:11], v[64:65], v[10:11]
	;; [unrolled: 1-line block ×6, first 2 shown]
	v_fma_f64 v[56:57], v[64:65], v[8:9], -v[32:33]
	v_fma_f64 v[34:35], v[46:47], v[8:9], v[10:11]
	v_fma_f64 v[32:33], v[50:51], v[16:17], v[52:53]
	v_fma_f64 v[8:9], v[68:69], v[16:17], -v[18:19]
	v_mul_f64 v[10:11], v[44:45], v[38:39]
	v_mul_f64 v[16:17], v[62:63], v[38:39]
	v_mul_f64 v[18:19], v[48:49], v[42:43]
	v_fma_f64 v[50:51], v[60:61], v[28:29], -v[54:55]
	v_fma_f64 v[14:15], v[14:15], v[28:29], v[30:31]
	v_mul_f64 v[42:43], v[66:67], v[42:43]
	v_add_f64 v[28:29], v[34:35], v[32:33]
	v_add_f64 v[30:31], v[56:57], v[8:9]
	v_fma_f64 v[38:39], v[62:63], v[36:37], -v[10:11]
	v_fma_f64 v[46:47], v[44:45], v[36:37], v[16:17]
	v_fma_f64 v[44:45], v[66:67], v[40:41], -v[18:19]
	v_add_f64 v[10:11], v[34:35], -v[32:33]
	v_add_f64 v[16:17], v[56:57], -v[8:9]
	v_fma_f64 v[36:37], v[48:49], v[40:41], v[42:43]
	v_fma_f64 v[18:19], v[28:29], -0.5, v[14:15]
	v_fma_f64 v[28:29], v[30:31], -0.5, v[50:51]
	v_add_f64 v[52:53], v[58:59], v[38:39]
	v_add_f64 v[56:57], v[50:51], v[56:57]
	;; [unrolled: 1-line block ×3, first 2 shown]
	v_add_f64 v[54:55], v[46:47], -v[36:37]
	v_fma_f64 v[42:43], v[16:17], s[4:5], v[18:19]
	v_fma_f64 v[40:41], v[10:11], s[4:5], v[28:29]
	v_fma_f64 v[50:51], v[10:11], s[2:3], v[28:29]
	v_fma_f64 v[48:49], v[16:17], s[2:3], v[18:19]
	v_fma_f64 v[30:31], v[30:31], -0.5, v[58:59]
	v_add_f64 v[18:19], v[52:53], v[44:45]
	v_add_f64 v[28:29], v[56:57], v[8:9]
	v_mov_b32_e32 v58, 3
	v_mul_f64 v[10:11], v[42:43], s[2:3]
	v_mul_f64 v[16:17], v[40:41], -0.5
	v_mul_u32_u24_e32 v59, 0x210, v72
	v_fma_f64 v[52:53], v[54:55], s[2:3], v[30:31]
	v_fma_f64 v[30:31], v[54:55], s[4:5], v[30:31]
	v_add_f64 v[8:9], v[18:19], v[28:29]
	v_add_f64 v[18:19], v[18:19], -v[28:29]
	v_fma_f64 v[54:55], v[50:51], 0.5, v[10:11]
	v_fma_f64 v[56:57], v[48:49], s[2:3], v[16:17]
	v_add_f64 v[10:11], v[52:53], v[54:55]
	v_add_f64 v[16:17], v[30:31], v[56:57]
	v_add_f64 v[28:29], v[52:53], -v[54:55]
	v_add_f64 v[30:31], v[30:31], -v[56:57]
	v_lshlrev_b32_sdwa v52, v58, v73 dst_sel:DWORD dst_unused:UNUSED_PAD src0_sel:DWORD src1_sel:BYTE_0
	v_add3_u32 v52, 0, v59, v52
	ds_write2_b64 v52, v[8:9], v[10:11] offset1:11
	ds_write2_b64 v52, v[16:17], v[18:19] offset0:22 offset1:33
	ds_write2_b64 v52, v[28:29], v[30:31] offset0:44 offset1:55
	s_waitcnt lgkmcnt(0)
	s_barrier
	s_and_saveexec_b64 s[6:7], s[0:1]
	s_cbranch_execz .LBB0_17
; %bb.16:
	v_add_u32_e32 v0, 0x800, v112
	v_add_u32_e32 v4, 0x1000, v112
	ds_read2_b64 v[8:11], v112 offset1:66
	ds_read2_b64 v[16:19], v112 offset0:132 offset1:198
	ds_read2_b64 v[28:31], v0 offset0:8 offset1:74
	;; [unrolled: 1-line block ×4, first 2 shown]
.LBB0_17:
	s_or_b64 exec, exec, s[6:7]
	v_add_f64 v[53:54], v[46:47], v[36:37]
	v_add_f64 v[46:47], v[12:13], v[46:47]
	v_add_f64 v[38:39], v[38:39], -v[44:45]
	v_add_f64 v[14:15], v[14:15], v[34:35]
	v_mul_f64 v[34:35], v[50:51], s[4:5]
	v_mul_f64 v[44:45], v[48:49], -0.5
	s_waitcnt lgkmcnt(0)
	s_barrier
	v_fma_f64 v[12:13], v[53:54], -0.5, v[12:13]
	v_add_f64 v[36:37], v[46:47], v[36:37]
	v_add_f64 v[14:15], v[14:15], v[32:33]
	v_fma_f64 v[42:43], v[42:43], 0.5, v[34:35]
	v_fma_f64 v[40:41], v[40:41], s[4:5], v[44:45]
	v_fma_f64 v[44:45], v[38:39], s[4:5], v[12:13]
	;; [unrolled: 1-line block ×3, first 2 shown]
	v_add_f64 v[12:13], v[36:37], v[14:15]
	v_add_f64 v[34:35], v[36:37], -v[14:15]
	v_add_f64 v[14:15], v[44:45], v[42:43]
	v_add_f64 v[32:33], v[38:39], v[40:41]
	v_add_f64 v[36:37], v[44:45], -v[42:43]
	v_add_f64 v[38:39], v[38:39], -v[40:41]
	ds_write2_b64 v52, v[12:13], v[14:15] offset1:11
	ds_write2_b64 v52, v[32:33], v[34:35] offset0:22 offset1:33
	ds_write2_b64 v52, v[36:37], v[38:39] offset0:44 offset1:55
	s_waitcnt lgkmcnt(0)
	s_barrier
	s_and_saveexec_b64 s[2:3], s[0:1]
	s_cbranch_execnz .LBB0_20
; %bb.18:
	s_or_b64 exec, exec, s[2:3]
	s_and_b64 s[0:1], vcc, s[0:1]
	s_and_saveexec_b64 s[2:3], s[0:1]
	s_cbranch_execnz .LBB0_21
.LBB0_19:
	s_endpgm
.LBB0_20:
	v_add_u32_e32 v20, 0x800, v112
	v_add_u32_e32 v24, 0x1000, v112
	ds_read2_b64 v[12:15], v112 offset1:66
	ds_read2_b64 v[32:35], v112 offset0:132 offset1:198
	ds_read2_b64 v[36:39], v20 offset0:8 offset1:74
	;; [unrolled: 1-line block ×4, first 2 shown]
	s_or_b64 exec, exec, s[2:3]
	s_and_b64 s[0:1], vcc, s[0:1]
	s_and_saveexec_b64 s[2:3], s[0:1]
	s_cbranch_execz .LBB0_19
.LBB0_21:
	v_mul_u32_u24_e32 v40, 9, v114
	v_lshlrev_b32_e32 v68, 4, v40
	global_load_dwordx4 v[40:43], v68, s[8:9] offset:896
	global_load_dwordx4 v[44:47], v68, s[8:9] offset:928
	;; [unrolled: 1-line block ×9, first 2 shown]
	s_mov_b32 s2, 0x134454ff
	s_mov_b32 s3, 0x3fee6f0e
	;; [unrolled: 1-line block ×12, first 2 shown]
	s_waitcnt vmcnt(8) lgkmcnt(3)
	v_mul_f64 v[68:69], v[32:33], v[40:41]
	s_waitcnt vmcnt(7) lgkmcnt(2)
	v_mul_f64 v[80:81], v[36:37], v[44:45]
	;; [unrolled: 2-line block ×3, first 2 shown]
	s_waitcnt vmcnt(5)
	v_mul_f64 v[84:85], v[20:21], v[52:53]
	v_mul_f64 v[20:21], v[20:21], v[54:55]
	v_mul_f64 v[24:25], v[24:25], v[50:51]
	s_waitcnt vmcnt(4)
	v_mul_f64 v[86:87], v[34:35], v[58:59]
	s_waitcnt vmcnt(3)
	v_mul_f64 v[88:89], v[38:39], v[62:63]
	;; [unrolled: 2-line block ×4, first 2 shown]
	v_mul_f64 v[62:63], v[30:31], v[62:63]
	v_mul_f64 v[74:75], v[2:3], v[74:75]
	;; [unrolled: 1-line block ×4, first 2 shown]
	s_waitcnt vmcnt(0)
	v_mul_f64 v[94:95], v[14:15], v[78:79]
	v_mul_f64 v[58:59], v[18:19], v[58:59]
	;; [unrolled: 1-line block ×4, first 2 shown]
	v_fma_f64 v[42:43], v[16:17], v[42:43], v[68:69]
	v_fma_f64 v[46:47], v[28:29], v[46:47], v[80:81]
	;; [unrolled: 1-line block ×4, first 2 shown]
	v_fma_f64 v[0:1], v[0:1], v[52:53], -v[20:21]
	v_fma_f64 v[4:5], v[4:5], v[48:49], -v[24:25]
	;; [unrolled: 1-line block ×6, first 2 shown]
	v_fma_f64 v[6:7], v[38:39], v[60:61], v[62:63]
	v_fma_f64 v[22:23], v[22:23], v[72:73], v[74:75]
	v_fma_f64 v[28:29], v[28:29], v[44:45], -v[36:37]
	v_fma_f64 v[16:17], v[16:17], v[40:41], -v[32:33]
	;; [unrolled: 1-line block ×3, first 2 shown]
	v_fma_f64 v[2:3], v[34:35], v[56:57], v[58:59]
	v_fma_f64 v[26:27], v[26:27], v[64:65], v[66:67]
	;; [unrolled: 1-line block ×3, first 2 shown]
	v_add_f64 v[32:33], v[42:43], -v[46:47]
	v_add_f64 v[34:35], v[50:51], -v[54:55]
	v_add_f64 v[40:41], v[46:47], v[54:55]
	v_add_f64 v[44:45], v[18:19], -v[20:21]
	v_add_f64 v[48:49], v[24:25], -v[30:31]
	v_add_f64 v[52:53], v[20:21], v[30:31]
	v_add_f64 v[66:67], v[6:7], v[22:23]
	v_add_f64 v[56:57], v[2:3], -v[26:27]
	v_add_f64 v[60:61], v[2:3], -v[6:7]
	;; [unrolled: 1-line block ×4, first 2 shown]
	v_add_f64 v[76:77], v[42:43], v[50:51]
	v_add_f64 v[78:79], v[20:21], -v[18:19]
	v_add_f64 v[80:81], v[30:31], -v[24:25]
	v_add_f64 v[82:83], v[18:19], v[24:25]
	v_add_f64 v[90:91], v[12:13], v[42:43]
	;; [unrolled: 1-line block ×3, first 2 shown]
	v_fma_f64 v[34:35], v[40:41], -0.5, v[12:13]
	v_add_f64 v[40:41], v[44:45], v[48:49]
	v_fma_f64 v[44:45], v[52:53], -0.5, v[10:11]
	v_fma_f64 v[52:53], v[66:67], -0.5, v[14:15]
	v_add_f64 v[88:89], v[2:3], v[26:27]
	v_add_f64 v[36:37], v[28:29], -v[0:1]
	v_add_f64 v[58:59], v[6:7], -v[22:23]
	;; [unrolled: 1-line block ×5, first 2 shown]
	v_add_f64 v[48:49], v[60:61], v[62:63]
	v_fma_f64 v[12:13], v[76:77], -0.5, v[12:13]
	v_add_f64 v[62:63], v[78:79], v[80:81]
	v_fma_f64 v[66:67], v[82:83], -0.5, v[10:11]
	v_add_f64 v[46:47], v[90:91], v[46:47]
	v_fma_f64 v[76:77], v[56:57], s[6:7], v[44:45]
	v_fma_f64 v[78:79], v[68:69], s[2:3], v[52:53]
	v_add_f64 v[38:39], v[16:17], -v[4:5]
	v_add_f64 v[74:75], v[54:55], -v[50:51]
	;; [unrolled: 1-line block ×4, first 2 shown]
	v_add_f64 v[2:3], v[2:3], v[14:15]
	v_fma_f64 v[14:15], v[88:89], -0.5, v[14:15]
	v_fma_f64 v[80:81], v[36:37], s[6:7], v[12:13]
	v_fma_f64 v[82:83], v[58:59], s[2:3], v[66:67]
	;; [unrolled: 1-line block ×5, first 2 shown]
	v_add_f64 v[46:47], v[46:47], v[54:55]
	v_fma_f64 v[54:55], v[58:59], s[8:9], v[76:77]
	v_fma_f64 v[76:77], v[64:65], s[4:5], v[78:79]
	v_add_f64 v[60:61], v[72:73], v[74:75]
	v_add_f64 v[72:73], v[84:85], v[86:87]
	;; [unrolled: 1-line block ×3, first 2 shown]
	v_fma_f64 v[6:7], v[38:39], s[2:3], v[34:35]
	v_fma_f64 v[84:85], v[64:65], s[6:7], v[14:15]
	;; [unrolled: 1-line block ×5, first 2 shown]
	v_add_f64 v[100:101], v[16:17], v[4:5]
	v_fma_f64 v[80:81], v[38:39], s[4:5], v[80:81]
	v_fma_f64 v[82:83], v[56:57], s[8:9], v[82:83]
	;; [unrolled: 1-line block ×6, first 2 shown]
	v_add_f64 v[96:97], v[28:29], v[0:1]
	v_fma_f64 v[6:7], v[36:37], s[4:5], v[6:7]
	v_fma_f64 v[78:79], v[68:69], s[4:5], v[84:85]
	;; [unrolled: 1-line block ×6, first 2 shown]
	v_add_f64 v[22:23], v[22:23], v[2:3]
	v_add_f64 v[42:43], v[42:43], -v[50:51]
	v_fma_f64 v[40:41], v[40:41], s[0:1], v[44:45]
	v_mul_f64 v[44:45], v[56:57], s[10:11]
	v_add_f64 v[46:47], v[50:51], v[46:47]
	v_fma_f64 v[50:51], v[100:101], -0.5, v[8:9]
	v_fma_f64 v[74:75], v[96:97], -0.5, v[8:9]
	v_fma_f64 v[58:59], v[72:73], s[0:1], v[78:79]
	v_fma_f64 v[38:39], v[62:63], s[0:1], v[38:39]
	;; [unrolled: 1-line block ×3, first 2 shown]
	v_add_f64 v[72:73], v[26:27], v[22:23]
	v_mul_f64 v[22:23], v[52:53], s[10:11]
	v_add_f64 v[8:9], v[8:9], v[16:17]
	v_add_f64 v[10:11], v[18:19], v[10:11]
	v_add_f64 v[92:93], v[16:17], -v[28:29]
	v_fma_f64 v[54:55], v[62:63], s[0:1], v[82:83]
	v_fma_f64 v[44:45], v[52:53], s[8:9], -v[44:45]
	v_add_f64 v[26:27], v[28:29], -v[16:17]
	v_add_f64 v[52:53], v[0:1], -v[4:5]
	v_fma_f64 v[16:17], v[98:99], s[2:3], v[50:51]
	v_add_f64 v[94:95], v[4:5], -v[0:1]
	v_fma_f64 v[64:65], v[32:33], s[0:1], v[6:7]
	v_fma_f64 v[36:37], v[48:49], s[0:1], v[36:37]
	v_mul_f64 v[6:7], v[38:39], s[6:7]
	v_fma_f64 v[68:69], v[42:43], s[6:7], v[74:75]
	v_fma_f64 v[18:19], v[98:99], s[6:7], v[50:51]
	v_fma_f64 v[50:51], v[56:57], s[4:5], -v[22:23]
	v_fma_f64 v[22:23], v[42:43], s[2:3], v[74:75]
	v_add_f64 v[8:9], v[8:9], v[28:29]
	v_add_f64 v[10:11], v[20:21], v[10:11]
	v_mul_f64 v[48:49], v[40:41], s[8:9]
	v_add_f64 v[26:27], v[26:27], v[52:53]
	v_fma_f64 v[16:17], v[42:43], s[8:9], v[16:17]
	v_mul_f64 v[20:21], v[54:55], s[0:1]
	v_mul_f64 v[62:63], v[58:59], s[0:1]
	v_fma_f64 v[66:67], v[60:61], s[0:1], v[80:81]
	v_fma_f64 v[60:61], v[60:61], s[0:1], v[12:13]
	;; [unrolled: 1-line block ×4, first 2 shown]
	v_add_f64 v[12:13], v[92:93], v[94:95]
	v_fma_f64 v[68:69], v[98:99], s[8:9], v[68:69]
	v_fma_f64 v[18:19], v[42:43], s[4:5], v[18:19]
	v_mul_f64 v[14:15], v[14:15], s[2:3]
	v_fma_f64 v[22:23], v[98:99], s[4:5], v[22:23]
	v_mul_f64 v[28:29], v[36:37], s[4:5]
	v_add_f64 v[0:1], v[8:9], v[0:1]
	v_add_f64 v[8:9], v[30:31], v[10:11]
	v_fma_f64 v[48:49], v[36:37], s[10:11], v[48:49]
	v_fma_f64 v[36:37], v[26:27], s[0:1], v[16:17]
	v_fma_f64 v[42:43], v[58:59], s[2:3], -v[20:21]
	v_fma_f64 v[62:63], v[54:55], s[6:7], -v[62:63]
	v_add_f64 v[2:3], v[64:65], -v[44:45]
	v_fma_f64 v[68:69], v[12:13], s[0:1], v[68:69]
	v_fma_f64 v[52:53], v[26:27], s[0:1], v[18:19]
	;; [unrolled: 1-line block ×5, first 2 shown]
	v_add_f64 v[58:59], v[4:5], v[0:1]
	v_add_f64 v[74:75], v[24:25], v[8:9]
	;; [unrolled: 1-line block ×3, first 2 shown]
	v_mad_u64_u32 v[44:45], s[0:1], s12, v114, 0
	v_add_f64 v[4:5], v[36:37], -v[42:43]
	v_add_f64 v[24:25], v[36:37], v[42:43]
	v_mov_b32_e32 v28, v45
	v_mad_u64_u32 v[42:43], s[0:1], s13, v114, v[28:29]
	v_add_f64 v[18:19], v[46:47], -v[72:73]
	v_add_f64 v[38:39], v[46:47], v[72:73]
	v_add_u32_e32 v46, 0x42, v114
	v_add_f64 v[10:11], v[60:61], -v[34:35]
	v_add_f64 v[14:15], v[32:33], -v[48:49]
	;; [unrolled: 1-line block ×3, first 2 shown]
	v_add_f64 v[30:31], v[60:61], v[34:35]
	v_add_f64 v[34:35], v[32:33], v[48:49]
	;; [unrolled: 1-line block ×4, first 2 shown]
	v_mad_u64_u32 v[40:41], s[0:1], s12, v46, 0
	v_mov_b32_e32 v45, v42
	v_mov_b32_e32 v42, s15
	v_add_co_u32_e32 v47, vcc, s14, v70
	v_addc_co_u32_e32 v48, vcc, v42, v71, vcc
	v_lshlrev_b64 v[42:43], 4, v[44:45]
	v_add_f64 v[28:29], v[52:53], v[54:55]
	v_mad_u64_u32 v[44:45], s[0:1], s13, v46, v[41:42]
	v_add_co_u32_e32 v41, vcc, v47, v42
	v_addc_co_u32_e32 v42, vcc, v48, v43, vcc
	global_store_dwordx4 v[41:42], v[36:39], off
	v_mov_b32_e32 v41, v44
	v_lshlrev_b64 v[36:37], 4, v[40:41]
	v_add_u32_e32 v40, 0x84, v114
	v_mad_u64_u32 v[38:39], s[0:1], s12, v40, 0
	v_add_co_u32_e32 v36, vcc, v47, v36
	v_mad_u64_u32 v[39:40], s[0:1], s13, v40, v[39:40]
	v_add_u32_e32 v42, 0xc6, v114
	v_addc_co_u32_e32 v37, vcc, v48, v37, vcc
	v_mad_u64_u32 v[40:41], s[0:1], s12, v42, 0
	global_store_dwordx4 v[36:37], v[32:35], off
	v_add_f64 v[26:27], v[66:67], v[62:63]
	v_lshlrev_b64 v[32:33], 4, v[38:39]
	v_mov_b32_e32 v34, v41
	v_add_co_u32_e32 v32, vcc, v47, v32
	v_addc_co_u32_e32 v33, vcc, v48, v33, vcc
	v_mad_u64_u32 v[34:35], s[0:1], s13, v42, v[34:35]
	global_store_dwordx4 v[32:33], v[28:31], off
	v_add_u32_e32 v32, 0x108, v114
	v_mad_u64_u32 v[30:31], s[0:1], s12, v32, 0
	v_mov_b32_e32 v41, v34
	v_add_f64 v[20:21], v[68:69], v[50:51]
	v_lshlrev_b64 v[28:29], 4, v[40:41]
	v_mad_u64_u32 v[31:32], s[0:1], s13, v32, v[31:32]
	v_add_co_u32_e32 v28, vcc, v47, v28
	v_add_u32_e32 v34, 0x14a, v114
	v_addc_co_u32_e32 v29, vcc, v48, v29, vcc
	v_mad_u64_u32 v[32:33], s[0:1], s12, v34, 0
	global_store_dwordx4 v[28:29], v[24:27], off
	v_add_f64 v[16:17], v[58:59], -v[74:75]
	v_lshlrev_b64 v[24:25], 4, v[30:31]
	v_mov_b32_e32 v26, v33
	v_add_co_u32_e32 v24, vcc, v47, v24
	v_addc_co_u32_e32 v25, vcc, v48, v25, vcc
	v_mad_u64_u32 v[26:27], s[0:1], s13, v34, v[26:27]
	global_store_dwordx4 v[24:25], v[20:23], off
	v_add_u32_e32 v24, 0x18c, v114
	v_mad_u64_u32 v[22:23], s[0:1], s12, v24, 0
	v_mov_b32_e32 v33, v26
	v_lshlrev_b64 v[20:21], 4, v[32:33]
	v_mad_u64_u32 v[23:24], s[0:1], s13, v24, v[23:24]
	v_add_co_u32_e32 v20, vcc, v47, v20
	v_addc_co_u32_e32 v21, vcc, v48, v21, vcc
	v_add_u32_e32 v26, 0x1ce, v114
	v_mad_u64_u32 v[24:25], s[0:1], s12, v26, 0
	global_store_dwordx4 v[20:21], v[16:19], off
	v_add_f64 v[8:9], v[52:53], -v[54:55]
	v_lshlrev_b64 v[16:17], 4, v[22:23]
	v_mov_b32_e32 v18, v25
	v_add_co_u32_e32 v16, vcc, v47, v16
	v_addc_co_u32_e32 v17, vcc, v48, v17, vcc
	global_store_dwordx4 v[16:17], v[12:15], off
	v_add_u32_e32 v16, 0x210, v114
	v_mad_u64_u32 v[18:19], s[0:1], s13, v26, v[18:19]
	v_mad_u64_u32 v[14:15], s[0:1], s12, v16, 0
	v_mov_b32_e32 v25, v18
	v_add_u32_e32 v18, 0x252, v114
	v_mad_u64_u32 v[15:16], s[0:1], s13, v16, v[15:16]
	v_lshlrev_b64 v[12:13], 4, v[24:25]
	v_mad_u64_u32 v[16:17], s[0:1], s12, v18, 0
	v_add_f64 v[6:7], v[66:67], -v[62:63]
	v_add_co_u32_e32 v12, vcc, v47, v12
	v_addc_co_u32_e32 v13, vcc, v48, v13, vcc
	global_store_dwordx4 v[12:13], v[8:11], off
	v_add_f64 v[0:1], v[68:69], -v[50:51]
	v_mov_b32_e32 v10, v17
	v_mad_u64_u32 v[10:11], s[0:1], s13, v18, v[10:11]
	v_lshlrev_b64 v[8:9], 4, v[14:15]
	v_add_co_u32_e32 v8, vcc, v47, v8
	v_addc_co_u32_e32 v9, vcc, v48, v9, vcc
	v_mov_b32_e32 v17, v10
	global_store_dwordx4 v[8:9], v[4:7], off
	s_nop 0
	v_lshlrev_b64 v[4:5], 4, v[16:17]
	v_add_co_u32_e32 v4, vcc, v47, v4
	v_addc_co_u32_e32 v5, vcc, v48, v5, vcc
	global_store_dwordx4 v[4:5], v[0:3], off
	s_endpgm
	.section	.rodata,"a",@progbits
	.p2align	6, 0x0
	.amdhsa_kernel fft_rtc_fwd_len660_factors_11_6_10_wgs_110_tpt_110_halfLds_dp_ip_CI_sbrr_dirReg
		.amdhsa_group_segment_fixed_size 0
		.amdhsa_private_segment_fixed_size 0
		.amdhsa_kernarg_size 88
		.amdhsa_user_sgpr_count 6
		.amdhsa_user_sgpr_private_segment_buffer 1
		.amdhsa_user_sgpr_dispatch_ptr 0
		.amdhsa_user_sgpr_queue_ptr 0
		.amdhsa_user_sgpr_kernarg_segment_ptr 1
		.amdhsa_user_sgpr_dispatch_id 0
		.amdhsa_user_sgpr_flat_scratch_init 0
		.amdhsa_user_sgpr_private_segment_size 0
		.amdhsa_uses_dynamic_stack 0
		.amdhsa_system_sgpr_private_segment_wavefront_offset 0
		.amdhsa_system_sgpr_workgroup_id_x 1
		.amdhsa_system_sgpr_workgroup_id_y 0
		.amdhsa_system_sgpr_workgroup_id_z 0
		.amdhsa_system_sgpr_workgroup_info 0
		.amdhsa_system_vgpr_workitem_id 0
		.amdhsa_next_free_vgpr 149
		.amdhsa_next_free_sgpr 40
		.amdhsa_reserve_vcc 1
		.amdhsa_reserve_flat_scratch 0
		.amdhsa_float_round_mode_32 0
		.amdhsa_float_round_mode_16_64 0
		.amdhsa_float_denorm_mode_32 3
		.amdhsa_float_denorm_mode_16_64 3
		.amdhsa_dx10_clamp 1
		.amdhsa_ieee_mode 1
		.amdhsa_fp16_overflow 0
		.amdhsa_exception_fp_ieee_invalid_op 0
		.amdhsa_exception_fp_denorm_src 0
		.amdhsa_exception_fp_ieee_div_zero 0
		.amdhsa_exception_fp_ieee_overflow 0
		.amdhsa_exception_fp_ieee_underflow 0
		.amdhsa_exception_fp_ieee_inexact 0
		.amdhsa_exception_int_div_zero 0
	.end_amdhsa_kernel
	.text
.Lfunc_end0:
	.size	fft_rtc_fwd_len660_factors_11_6_10_wgs_110_tpt_110_halfLds_dp_ip_CI_sbrr_dirReg, .Lfunc_end0-fft_rtc_fwd_len660_factors_11_6_10_wgs_110_tpt_110_halfLds_dp_ip_CI_sbrr_dirReg
                                        ; -- End function
	.section	.AMDGPU.csdata,"",@progbits
; Kernel info:
; codeLenInByte = 8236
; NumSgprs: 44
; NumVgprs: 149
; ScratchSize: 0
; MemoryBound: 1
; FloatMode: 240
; IeeeMode: 1
; LDSByteSize: 0 bytes/workgroup (compile time only)
; SGPRBlocks: 5
; VGPRBlocks: 37
; NumSGPRsForWavesPerEU: 44
; NumVGPRsForWavesPerEU: 149
; Occupancy: 1
; WaveLimiterHint : 1
; COMPUTE_PGM_RSRC2:SCRATCH_EN: 0
; COMPUTE_PGM_RSRC2:USER_SGPR: 6
; COMPUTE_PGM_RSRC2:TRAP_HANDLER: 0
; COMPUTE_PGM_RSRC2:TGID_X_EN: 1
; COMPUTE_PGM_RSRC2:TGID_Y_EN: 0
; COMPUTE_PGM_RSRC2:TGID_Z_EN: 0
; COMPUTE_PGM_RSRC2:TIDIG_COMP_CNT: 0
	.type	__hip_cuid_b6f338515e397ecc,@object ; @__hip_cuid_b6f338515e397ecc
	.section	.bss,"aw",@nobits
	.globl	__hip_cuid_b6f338515e397ecc
__hip_cuid_b6f338515e397ecc:
	.byte	0                               ; 0x0
	.size	__hip_cuid_b6f338515e397ecc, 1

	.ident	"AMD clang version 19.0.0git (https://github.com/RadeonOpenCompute/llvm-project roc-6.4.0 25133 c7fe45cf4b819c5991fe208aaa96edf142730f1d)"
	.section	".note.GNU-stack","",@progbits
	.addrsig
	.addrsig_sym __hip_cuid_b6f338515e397ecc
	.amdgpu_metadata
---
amdhsa.kernels:
  - .args:
      - .actual_access:  read_only
        .address_space:  global
        .offset:         0
        .size:           8
        .value_kind:     global_buffer
      - .offset:         8
        .size:           8
        .value_kind:     by_value
      - .actual_access:  read_only
        .address_space:  global
        .offset:         16
        .size:           8
        .value_kind:     global_buffer
      - .actual_access:  read_only
        .address_space:  global
        .offset:         24
        .size:           8
        .value_kind:     global_buffer
      - .offset:         32
        .size:           8
        .value_kind:     by_value
      - .actual_access:  read_only
        .address_space:  global
        .offset:         40
        .size:           8
        .value_kind:     global_buffer
      - .actual_access:  read_only
        .address_space:  global
        .offset:         48
        .size:           8
        .value_kind:     global_buffer
      - .offset:         56
        .size:           4
        .value_kind:     by_value
      - .actual_access:  read_only
        .address_space:  global
        .offset:         64
        .size:           8
        .value_kind:     global_buffer
      - .actual_access:  read_only
        .address_space:  global
        .offset:         72
        .size:           8
        .value_kind:     global_buffer
      - .address_space:  global
        .offset:         80
        .size:           8
        .value_kind:     global_buffer
    .group_segment_fixed_size: 0
    .kernarg_segment_align: 8
    .kernarg_segment_size: 88
    .language:       OpenCL C
    .language_version:
      - 2
      - 0
    .max_flat_workgroup_size: 110
    .name:           fft_rtc_fwd_len660_factors_11_6_10_wgs_110_tpt_110_halfLds_dp_ip_CI_sbrr_dirReg
    .private_segment_fixed_size: 0
    .sgpr_count:     44
    .sgpr_spill_count: 0
    .symbol:         fft_rtc_fwd_len660_factors_11_6_10_wgs_110_tpt_110_halfLds_dp_ip_CI_sbrr_dirReg.kd
    .uniform_work_group_size: 1
    .uses_dynamic_stack: false
    .vgpr_count:     149
    .vgpr_spill_count: 0
    .wavefront_size: 64
amdhsa.target:   amdgcn-amd-amdhsa--gfx906
amdhsa.version:
  - 1
  - 2
...

	.end_amdgpu_metadata
